;; amdgpu-corpus repo=ROCm/rocFFT kind=compiled arch=gfx906 opt=O3
	.text
	.amdgcn_target "amdgcn-amd-amdhsa--gfx906"
	.amdhsa_code_object_version 6
	.protected	fft_rtc_back_len352_factors_11_2_16_wgs_64_tpt_32_dp_ip_CI_unitstride_sbrr_dirReg ; -- Begin function fft_rtc_back_len352_factors_11_2_16_wgs_64_tpt_32_dp_ip_CI_unitstride_sbrr_dirReg
	.globl	fft_rtc_back_len352_factors_11_2_16_wgs_64_tpt_32_dp_ip_CI_unitstride_sbrr_dirReg
	.p2align	8
	.type	fft_rtc_back_len352_factors_11_2_16_wgs_64_tpt_32_dp_ip_CI_unitstride_sbrr_dirReg,@function
fft_rtc_back_len352_factors_11_2_16_wgs_64_tpt_32_dp_ip_CI_unitstride_sbrr_dirReg: ; @fft_rtc_back_len352_factors_11_2_16_wgs_64_tpt_32_dp_ip_CI_unitstride_sbrr_dirReg
; %bb.0:
	s_load_dwordx2 s[12:13], s[4:5], 0x50
	s_load_dwordx4 s[8:11], s[4:5], 0x0
	s_load_dwordx2 s[2:3], s[4:5], 0x18
	v_lshrrev_b32_e32 v1, 5, v0
	v_lshl_or_b32 v5, s6, 1, v1
	v_mov_b32_e32 v3, 0
	s_waitcnt lgkmcnt(0)
	v_cmp_lt_u64_e64 s[0:1], s[10:11], 2
	v_mov_b32_e32 v1, 0
	v_mov_b32_e32 v6, v3
	s_and_b64 vcc, exec, s[0:1]
	v_mov_b32_e32 v2, 0
	s_cbranch_vccnz .LBB0_8
; %bb.1:
	s_load_dwordx2 s[0:1], s[4:5], 0x10
	s_add_u32 s6, s2, 8
	s_addc_u32 s7, s3, 0
	v_mov_b32_e32 v1, 0
	v_mov_b32_e32 v2, 0
	s_waitcnt lgkmcnt(0)
	s_add_u32 s14, s0, 8
	s_addc_u32 s15, s1, 0
	s_mov_b64 s[16:17], 1
.LBB0_2:                                ; =>This Inner Loop Header: Depth=1
	s_load_dwordx2 s[18:19], s[14:15], 0x0
                                        ; implicit-def: $vgpr7_vgpr8
	s_waitcnt lgkmcnt(0)
	v_or_b32_e32 v4, s19, v6
	v_cmp_ne_u64_e32 vcc, 0, v[3:4]
	s_and_saveexec_b64 s[0:1], vcc
	s_xor_b64 s[20:21], exec, s[0:1]
	s_cbranch_execz .LBB0_4
; %bb.3:                                ;   in Loop: Header=BB0_2 Depth=1
	v_cvt_f32_u32_e32 v4, s18
	v_cvt_f32_u32_e32 v7, s19
	s_sub_u32 s0, 0, s18
	s_subb_u32 s1, 0, s19
	v_mac_f32_e32 v4, 0x4f800000, v7
	v_rcp_f32_e32 v4, v4
	v_mul_f32_e32 v4, 0x5f7ffffc, v4
	v_mul_f32_e32 v7, 0x2f800000, v4
	v_trunc_f32_e32 v7, v7
	v_mac_f32_e32 v4, 0xcf800000, v7
	v_cvt_u32_f32_e32 v7, v7
	v_cvt_u32_f32_e32 v4, v4
	v_mul_lo_u32 v8, s0, v7
	v_mul_hi_u32 v9, s0, v4
	v_mul_lo_u32 v11, s1, v4
	v_mul_lo_u32 v10, s0, v4
	v_add_u32_e32 v8, v9, v8
	v_add_u32_e32 v8, v8, v11
	v_mul_hi_u32 v9, v4, v10
	v_mul_lo_u32 v11, v4, v8
	v_mul_hi_u32 v13, v4, v8
	v_mul_hi_u32 v12, v7, v10
	v_mul_lo_u32 v10, v7, v10
	v_mul_hi_u32 v14, v7, v8
	v_add_co_u32_e32 v9, vcc, v9, v11
	v_addc_co_u32_e32 v11, vcc, 0, v13, vcc
	v_mul_lo_u32 v8, v7, v8
	v_add_co_u32_e32 v9, vcc, v9, v10
	v_addc_co_u32_e32 v9, vcc, v11, v12, vcc
	v_addc_co_u32_e32 v10, vcc, 0, v14, vcc
	v_add_co_u32_e32 v8, vcc, v9, v8
	v_addc_co_u32_e32 v9, vcc, 0, v10, vcc
	v_add_co_u32_e32 v4, vcc, v4, v8
	v_addc_co_u32_e32 v7, vcc, v7, v9, vcc
	v_mul_lo_u32 v8, s0, v7
	v_mul_hi_u32 v9, s0, v4
	v_mul_lo_u32 v10, s1, v4
	v_mul_lo_u32 v11, s0, v4
	v_add_u32_e32 v8, v9, v8
	v_add_u32_e32 v8, v8, v10
	v_mul_lo_u32 v12, v4, v8
	v_mul_hi_u32 v13, v4, v11
	v_mul_hi_u32 v14, v4, v8
	;; [unrolled: 1-line block ×3, first 2 shown]
	v_mul_lo_u32 v11, v7, v11
	v_mul_hi_u32 v9, v7, v8
	v_add_co_u32_e32 v12, vcc, v13, v12
	v_addc_co_u32_e32 v13, vcc, 0, v14, vcc
	v_mul_lo_u32 v8, v7, v8
	v_add_co_u32_e32 v11, vcc, v12, v11
	v_addc_co_u32_e32 v10, vcc, v13, v10, vcc
	v_addc_co_u32_e32 v9, vcc, 0, v9, vcc
	v_add_co_u32_e32 v8, vcc, v10, v8
	v_addc_co_u32_e32 v9, vcc, 0, v9, vcc
	v_add_co_u32_e32 v4, vcc, v4, v8
	v_addc_co_u32_e32 v9, vcc, v7, v9, vcc
	v_mad_u64_u32 v[7:8], s[0:1], v5, v9, 0
	v_mul_hi_u32 v10, v5, v4
	v_add_co_u32_e32 v11, vcc, v10, v7
	v_addc_co_u32_e32 v12, vcc, 0, v8, vcc
	v_mad_u64_u32 v[7:8], s[0:1], v6, v4, 0
	v_mad_u64_u32 v[9:10], s[0:1], v6, v9, 0
	v_add_co_u32_e32 v4, vcc, v11, v7
	v_addc_co_u32_e32 v4, vcc, v12, v8, vcc
	v_addc_co_u32_e32 v7, vcc, 0, v10, vcc
	v_add_co_u32_e32 v4, vcc, v4, v9
	v_addc_co_u32_e32 v9, vcc, 0, v7, vcc
	v_mul_lo_u32 v10, s19, v4
	v_mul_lo_u32 v11, s18, v9
	v_mad_u64_u32 v[7:8], s[0:1], s18, v4, 0
	v_add3_u32 v8, v8, v11, v10
	v_sub_u32_e32 v10, v6, v8
	v_mov_b32_e32 v11, s19
	v_sub_co_u32_e32 v7, vcc, v5, v7
	v_subb_co_u32_e64 v10, s[0:1], v10, v11, vcc
	v_subrev_co_u32_e64 v11, s[0:1], s18, v7
	v_subbrev_co_u32_e64 v10, s[0:1], 0, v10, s[0:1]
	v_cmp_le_u32_e64 s[0:1], s19, v10
	v_cndmask_b32_e64 v12, 0, -1, s[0:1]
	v_cmp_le_u32_e64 s[0:1], s18, v11
	v_cndmask_b32_e64 v11, 0, -1, s[0:1]
	v_cmp_eq_u32_e64 s[0:1], s19, v10
	v_cndmask_b32_e64 v10, v12, v11, s[0:1]
	v_add_co_u32_e64 v11, s[0:1], 2, v4
	v_addc_co_u32_e64 v12, s[0:1], 0, v9, s[0:1]
	v_add_co_u32_e64 v13, s[0:1], 1, v4
	v_addc_co_u32_e64 v14, s[0:1], 0, v9, s[0:1]
	v_subb_co_u32_e32 v8, vcc, v6, v8, vcc
	v_cmp_ne_u32_e64 s[0:1], 0, v10
	v_cmp_le_u32_e32 vcc, s19, v8
	v_cndmask_b32_e64 v10, v14, v12, s[0:1]
	v_cndmask_b32_e64 v12, 0, -1, vcc
	v_cmp_le_u32_e32 vcc, s18, v7
	v_cndmask_b32_e64 v7, 0, -1, vcc
	v_cmp_eq_u32_e32 vcc, s19, v8
	v_cndmask_b32_e32 v7, v12, v7, vcc
	v_cmp_ne_u32_e32 vcc, 0, v7
	v_cndmask_b32_e64 v7, v13, v11, s[0:1]
	v_cndmask_b32_e32 v8, v9, v10, vcc
	v_cndmask_b32_e32 v7, v4, v7, vcc
.LBB0_4:                                ;   in Loop: Header=BB0_2 Depth=1
	s_andn2_saveexec_b64 s[0:1], s[20:21]
	s_cbranch_execz .LBB0_6
; %bb.5:                                ;   in Loop: Header=BB0_2 Depth=1
	v_cvt_f32_u32_e32 v4, s18
	s_sub_i32 s20, 0, s18
	v_rcp_iflag_f32_e32 v4, v4
	v_mul_f32_e32 v4, 0x4f7ffffe, v4
	v_cvt_u32_f32_e32 v4, v4
	v_mul_lo_u32 v7, s20, v4
	v_mul_hi_u32 v7, v4, v7
	v_add_u32_e32 v4, v4, v7
	v_mul_hi_u32 v4, v5, v4
	v_mul_lo_u32 v7, v4, s18
	v_add_u32_e32 v8, 1, v4
	v_sub_u32_e32 v7, v5, v7
	v_subrev_u32_e32 v9, s18, v7
	v_cmp_le_u32_e32 vcc, s18, v7
	v_cndmask_b32_e32 v7, v7, v9, vcc
	v_cndmask_b32_e32 v4, v4, v8, vcc
	v_add_u32_e32 v8, 1, v4
	v_cmp_le_u32_e32 vcc, s18, v7
	v_cndmask_b32_e32 v7, v4, v8, vcc
	v_mov_b32_e32 v8, v3
.LBB0_6:                                ;   in Loop: Header=BB0_2 Depth=1
	s_or_b64 exec, exec, s[0:1]
	v_mul_lo_u32 v4, v8, s18
	v_mul_lo_u32 v11, v7, s19
	v_mad_u64_u32 v[9:10], s[0:1], v7, s18, 0
	s_load_dwordx2 s[0:1], s[6:7], 0x0
	s_add_u32 s16, s16, 1
	v_add3_u32 v4, v10, v11, v4
	v_sub_co_u32_e32 v5, vcc, v5, v9
	v_subb_co_u32_e32 v4, vcc, v6, v4, vcc
	s_waitcnt lgkmcnt(0)
	v_mul_lo_u32 v4, s0, v4
	v_mul_lo_u32 v6, s1, v5
	v_mad_u64_u32 v[1:2], s[0:1], s0, v5, v[1:2]
	s_addc_u32 s17, s17, 0
	s_add_u32 s6, s6, 8
	v_add3_u32 v2, v6, v2, v4
	v_mov_b32_e32 v4, s10
	v_mov_b32_e32 v5, s11
	s_addc_u32 s7, s7, 0
	v_cmp_ge_u64_e32 vcc, s[16:17], v[4:5]
	s_add_u32 s14, s14, 8
	s_addc_u32 s15, s15, 0
	s_cbranch_vccnz .LBB0_9
; %bb.7:                                ;   in Loop: Header=BB0_2 Depth=1
	v_mov_b32_e32 v5, v7
	v_mov_b32_e32 v6, v8
	s_branch .LBB0_2
.LBB0_8:
	v_mov_b32_e32 v8, v6
	v_mov_b32_e32 v7, v5
.LBB0_9:
	s_lshl_b64 s[0:1], s[10:11], 3
	s_add_u32 s0, s2, s0
	s_addc_u32 s1, s3, s1
	s_load_dwordx2 s[2:3], s[0:1], 0x0
	s_load_dwordx2 s[6:7], s[4:5], 0x20
	v_and_b32_e32 v6, 32, v0
	v_and_b32_e32 v69, 31, v0
	v_mov_b32_e32 v3, 0x160
	s_waitcnt lgkmcnt(0)
	v_mul_lo_u32 v4, s2, v8
	v_mul_lo_u32 v5, s3, v7
	v_mad_u64_u32 v[1:2], s[0:1], s2, v7, v[1:2]
	v_cmp_gt_u64_e32 vcc, s[6:7], v[7:8]
	v_cmp_le_u64_e64 s[2:3], s[6:7], v[7:8]
	v_cmp_ne_u32_e64 s[0:1], 0, v6
	v_add3_u32 v2, v5, v2, v4
	v_or_b32_e32 v50, 32, v69
	v_or_b32_e32 v49, 64, v69
                                        ; implicit-def: $vgpr53
                                        ; implicit-def: $vgpr52
                                        ; implicit-def: $vgpr51
	s_and_saveexec_b64 s[4:5], s[2:3]
	s_xor_b64 s[2:3], exec, s[4:5]
; %bb.10:
	v_or_b32_e32 v50, 32, v69
	v_or_b32_e32 v49, 64, v69
	;; [unrolled: 1-line block ×5, first 2 shown]
; %bb.11:
	s_or_saveexec_b64 s[2:3], s[2:3]
	v_cndmask_b32_e64 v0, 0, v3, s[0:1]
	v_lshlrev_b64 v[64:65], 4, v[1:2]
	v_lshlrev_b32_e32 v66, 4, v69
	v_lshlrev_b32_e32 v48, 4, v0
	s_xor_b64 exec, exec, s[2:3]
	s_cbranch_execz .LBB0_13
; %bb.12:
	v_mov_b32_e32 v1, s13
	v_add_co_u32_e64 v25, s[0:1], s12, v64
	v_addc_co_u32_e64 v26, s[0:1], v1, v65, s[0:1]
	v_add_co_u32_e64 v45, s[0:1], v25, v66
	v_addc_co_u32_e64 v46, s[0:1], 0, v26, s[0:1]
	v_or_b32_e32 v27, 0x1000, v66
	v_add_co_u32_e64 v51, s[0:1], v25, v27
	v_or_b32_e32 v28, 0x1200, v66
	v_addc_co_u32_e64 v52, s[0:1], 0, v26, s[0:1]
	v_add_co_u32_e64 v53, s[0:1], v25, v28
	v_or_b32_e32 v29, 0x1400, v66
	v_addc_co_u32_e64 v54, s[0:1], 0, v26, s[0:1]
	v_add_co_u32_e64 v55, s[0:1], v25, v29
	global_load_dwordx4 v[1:4], v[45:46], off
	global_load_dwordx4 v[5:8], v[45:46], off offset:512
	global_load_dwordx4 v[9:12], v[45:46], off offset:1024
	;; [unrolled: 1-line block ×5, first 2 shown]
	v_addc_co_u32_e64 v56, s[0:1], 0, v26, s[0:1]
	global_load_dwordx4 v[25:28], v[45:46], off offset:3072
	global_load_dwordx4 v[29:32], v[45:46], off offset:3584
	global_load_dwordx4 v[33:36], v[51:52], off
	global_load_dwordx4 v[37:40], v[53:54], off
	;; [unrolled: 1-line block ×3, first 2 shown]
	v_or_b32_e32 v0, v0, v69
	v_or_b32_e32 v53, 0x60, v69
	;; [unrolled: 1-line block ×4, first 2 shown]
	v_lshl_add_u32 v0, v0, 4, 0
	v_add3_u32 v45, 0, v48, v66
	s_waitcnt vmcnt(10)
	ds_write_b128 v0, v[1:4]
	s_waitcnt vmcnt(9)
	ds_write_b128 v45, v[5:8] offset:512
	s_waitcnt vmcnt(8)
	ds_write_b128 v45, v[9:12] offset:1024
	;; [unrolled: 2-line block ×10, first 2 shown]
.LBB0_13:
	s_or_b64 exec, exec, s[2:3]
	v_add_u32_e32 v8, 0, v48
	v_add3_u32 v68, 0, v66, v48
	s_waitcnt lgkmcnt(0)
	; wave barrier
	s_waitcnt lgkmcnt(0)
	v_add_u32_e32 v67, v8, v66
	ds_read_b128 v[4:7], v68 offset:512
	ds_read_b128 v[0:3], v67
	ds_read_b128 v[9:12], v68 offset:1024
	ds_read_b128 v[13:16], v68 offset:1536
	s_mov_b32 s2, 0x8eee2c13
	s_mov_b32 s3, 0xbfed1bb4
	s_waitcnt lgkmcnt(2)
	v_add_f64 v[17:18], v[0:1], v[4:5]
	v_add_f64 v[19:20], v[2:3], v[6:7]
	s_mov_b32 s18, 0xf8bb580b
	s_mov_b32 s4, 0xd9c712b6
	;; [unrolled: 1-line block ×6, first 2 shown]
	s_waitcnt lgkmcnt(1)
	v_add_f64 v[17:18], v[17:18], v[9:10]
	v_add_f64 v[19:20], v[19:20], v[11:12]
	s_mov_b32 s5, 0x3fda9628
	s_mov_b32 s1, 0xbfefac9e
	ds_read_b128 v[21:24], v68 offset:2560
	s_mov_b32 s11, 0xbfe82f19
	s_mov_b32 s17, 0xbfd207e7
	;; [unrolled: 1-line block ×3, first 2 shown]
	s_waitcnt lgkmcnt(1)
	v_add_f64 v[25:26], v[17:18], v[13:14]
	v_add_f64 v[27:28], v[19:20], v[15:16]
	ds_read_b128 v[17:20], v68 offset:2048
	s_mov_b32 s6, 0x640f44db
	s_mov_b32 s22, 0x7f775887
	;; [unrolled: 1-line block ×5, first 2 shown]
	s_waitcnt lgkmcnt(0)
	v_add_f64 v[33:34], v[25:26], v[17:18]
	v_add_f64 v[35:36], v[27:28], v[19:20]
	ds_read_b128 v[25:28], v68 offset:3072
	ds_read_b128 v[29:32], v68 offset:3584
	s_mov_b32 s23, 0xbfe4f49e
	s_mov_b32 s31, 0xbfeeb42a
	;; [unrolled: 1-line block ×3, first 2 shown]
	s_waitcnt lgkmcnt(1)
	v_add_f64 v[56:57], v[21:22], v[25:26]
	v_add_f64 v[58:59], v[23:24], v[27:28]
	;; [unrolled: 1-line block ×4, first 2 shown]
	v_add_f64 v[60:61], v[21:22], -v[25:26]
	v_add_f64 v[62:63], v[23:24], -v[27:28]
	s_waitcnt lgkmcnt(0)
	v_add_f64 v[70:71], v[17:18], -v[29:30]
	v_add_f64 v[72:73], v[19:20], -v[31:32]
	ds_read_b128 v[33:36], v68 offset:4096
	ds_read_b128 v[37:40], v68 offset:4608
	;; [unrolled: 1-line block ×3, first 2 shown]
	s_mov_b32 s26, s18
	v_add_f64 v[21:22], v[45:46], v[25:26]
	v_add_f64 v[23:24], v[54:55], v[27:28]
	;; [unrolled: 1-line block ×4, first 2 shown]
	s_waitcnt lgkmcnt(2)
	v_add_f64 v[74:75], v[13:14], v[33:34]
	v_add_f64 v[76:77], v[15:16], v[35:36]
	s_waitcnt lgkmcnt(1)
	v_add_f64 v[78:79], v[9:10], v[37:38]
	v_add_f64 v[80:81], v[9:10], -v[37:38]
	v_add_f64 v[17:18], v[21:22], v[29:30]
	v_add_f64 v[19:20], v[23:24], v[31:32]
	v_add_f64 v[29:30], v[13:14], -v[33:34]
	v_add_f64 v[31:32], v[15:16], -v[35:36]
	s_waitcnt lgkmcnt(0)
	v_add_f64 v[13:14], v[6:7], -v[43:44]
	v_add_f64 v[27:28], v[11:12], v[39:40]
	v_add_f64 v[21:22], v[4:5], -v[41:42]
	s_mov_b32 s21, 0x3fed1bb4
	v_add_f64 v[9:10], v[17:18], v[33:34]
	v_add_f64 v[15:16], v[19:20], v[35:36]
	v_add_f64 v[33:34], v[11:12], -v[39:40]
	v_add_f64 v[11:12], v[4:5], v[41:42]
	v_add_f64 v[19:20], v[6:7], v[43:44]
	v_mul_f64 v[6:7], v[13:14], s[2:3]
	v_mul_f64 v[17:18], v[13:14], s[18:19]
	;; [unrolled: 1-line block ×3, first 2 shown]
	v_add_f64 v[4:5], v[9:10], v[37:38]
	v_add_f64 v[9:10], v[15:16], v[39:40]
	v_mul_f64 v[15:16], v[13:14], s[0:1]
	s_mov_b32 s20, s2
	v_mul_f64 v[84:85], v[19:20], s[6:7]
	v_fma_f64 v[35:36], v[11:12], s[4:5], v[6:7]
	v_fma_f64 v[37:38], v[11:12], s[4:5], -v[6:7]
	v_fma_f64 v[25:26], v[11:12], s[14:15], v[17:18]
	v_fma_f64 v[17:18], v[11:12], s[14:15], -v[17:18]
	v_add_f64 v[6:7], v[9:10], v[43:44]
	v_mul_f64 v[9:10], v[13:14], s[16:17]
	v_add_f64 v[4:5], v[4:5], v[41:42]
	v_fma_f64 v[13:14], v[11:12], s[6:7], v[15:16]
	v_fma_f64 v[15:16], v[11:12], s[6:7], -v[15:16]
	v_fma_f64 v[39:40], v[11:12], s[22:23], v[23:24]
	v_fma_f64 v[23:24], v[11:12], s[22:23], -v[23:24]
	v_mul_f64 v[41:42], v[19:20], s[14:15]
	v_mul_f64 v[88:89], v[19:20], s[22:23]
	v_fma_f64 v[43:44], v[11:12], s[30:31], v[9:10]
	v_fma_f64 v[9:10], v[11:12], s[30:31], -v[9:10]
	v_mul_f64 v[11:12], v[19:20], s[4:5]
	v_mul_f64 v[19:20], v[19:20], s[30:31]
	s_mov_b32 s25, 0x3fefac9e
	s_mov_b32 s24, s0
	v_fma_f64 v[82:83], v[21:22], s[26:27], v[41:42]
	s_mov_b32 s29, 0x3fe82f19
	s_mov_b32 s28, s10
	s_mov_b32 s35, 0x3fd207e7
	v_fma_f64 v[86:87], v[21:22], s[20:21], v[11:12]
	v_fma_f64 v[11:12], v[21:22], s[2:3], v[11:12]
	s_mov_b32 s34, s16
	v_fma_f64 v[41:42], v[21:22], s[18:19], v[41:42]
	v_fma_f64 v[90:91], v[21:22], s[24:25], v[84:85]
	;; [unrolled: 1-line block ×7, first 2 shown]
	v_add_f64 v[21:22], v[0:1], v[25:26]
	v_add_f64 v[25:26], v[2:3], v[82:83]
	;; [unrolled: 1-line block ×4, first 2 shown]
	v_mul_f64 v[11:12], v[33:34], s[2:3]
	v_mul_f64 v[96:97], v[27:28], s[4:5]
	v_add_f64 v[98:99], v[0:1], v[13:14]
	v_add_f64 v[100:101], v[0:1], v[15:16]
	v_mul_f64 v[102:103], v[31:32], s[0:1]
	v_mul_f64 v[104:105], v[76:77], s[6:7]
	v_add_f64 v[106:107], v[0:1], v[23:24]
	v_mul_f64 v[108:109], v[54:55], s[22:23]
	v_fma_f64 v[13:14], v[78:79], s[4:5], v[11:12]
	v_fma_f64 v[15:16], v[80:81], s[20:21], v[96:97]
	v_add_f64 v[17:18], v[0:1], v[17:18]
	v_add_f64 v[41:42], v[2:3], v[41:42]
	;; [unrolled: 1-line block ×3, first 2 shown]
	v_fma_f64 v[23:24], v[29:30], s[24:25], v[104:105]
	v_add_f64 v[37:38], v[0:1], v[37:38]
	v_add_f64 v[90:91], v[2:3], v[90:91]
	;; [unrolled: 1-line block ×4, first 2 shown]
	v_fma_f64 v[21:22], v[74:75], s[6:7], v[102:103]
	v_mul_f64 v[25:26], v[72:73], s[10:11]
	v_add_f64 v[84:85], v[2:3], v[84:85]
	v_add_f64 v[39:40], v[0:1], v[39:40]
	;; [unrolled: 1-line block ×8, first 2 shown]
	v_fma_f64 v[0:1], v[78:79], s[4:5], -v[11:12]
	v_fma_f64 v[2:3], v[80:81], s[2:3], v[96:97]
	v_add_f64 v[9:10], v[21:22], v[13:14]
	v_add_f64 v[11:12], v[23:24], v[15:16]
	v_fma_f64 v[13:14], v[45:46], s[22:23], v[25:26]
	v_fma_f64 v[15:16], v[70:71], s[28:29], v[108:109]
	v_mul_f64 v[19:20], v[62:63], s[16:17]
	v_mul_f64 v[21:22], v[58:59], s[30:31]
	v_add_f64 v[0:1], v[0:1], v[17:18]
	v_add_f64 v[2:3], v[2:3], v[41:42]
	v_fma_f64 v[17:18], v[74:75], s[6:7], -v[102:103]
	v_fma_f64 v[23:24], v[29:30], s[0:1], v[104:105]
	v_add_f64 v[9:10], v[13:14], v[9:10]
	v_add_f64 v[11:12], v[15:16], v[11:12]
	v_fma_f64 v[13:14], v[56:57], s[30:31], v[19:20]
	v_fma_f64 v[15:16], v[60:61], s[34:35], v[21:22]
	v_mul_f64 v[41:42], v[33:34], s[10:11]
	v_mul_f64 v[96:97], v[27:28], s[22:23]
	v_add_f64 v[0:1], v[17:18], v[0:1]
	v_add_f64 v[2:3], v[23:24], v[2:3]
	;; [unrolled: 10-line block ×8, first 2 shown]
	v_fma_f64 v[25:26], v[78:79], s[30:31], -v[86:87]
	v_fma_f64 v[35:36], v[80:81], s[34:35], v[102:103]
	v_add_f64 v[21:22], v[41:42], v[21:22]
	v_add_f64 v[23:24], v[90:91], v[23:24]
	v_fma_f64 v[41:42], v[45:46], s[14:15], v[96:97]
	v_fma_f64 v[86:87], v[70:71], s[26:27], v[98:99]
	v_mul_f64 v[90:91], v[62:63], s[10:11]
	v_fma_f64 v[37:38], v[74:75], s[4:5], -v[37:38]
	v_add_f64 v[25:26], v[25:26], v[100:101]
	v_add_f64 v[35:36], v[35:36], v[84:85]
	v_fma_f64 v[82:83], v[29:30], s[20:21], v[82:83]
	v_mul_f64 v[84:85], v[33:34], s[24:25]
	v_add_f64 v[21:22], v[41:42], v[21:22]
	v_add_f64 v[23:24], v[86:87], v[23:24]
	v_fma_f64 v[41:42], v[56:57], s[22:23], v[90:91]
	v_mul_f64 v[86:87], v[27:28], s[6:7]
	v_mul_f64 v[102:103], v[58:59], s[22:23]
	v_add_f64 v[25:26], v[37:38], v[25:26]
	v_add_f64 v[35:36], v[82:83], v[35:36]
	v_fma_f64 v[37:38], v[45:46], s[14:15], -v[96:97]
	v_fma_f64 v[82:83], v[70:71], s[18:19], v[98:99]
	v_mul_f64 v[98:99], v[31:32], s[18:19]
	v_add_f64 v[21:22], v[41:42], v[21:22]
	v_fma_f64 v[41:42], v[78:79], s[6:7], v[84:85]
	v_fma_f64 v[96:97], v[80:81], s[0:1], v[86:87]
	v_mul_f64 v[104:105], v[76:77], s[14:15]
	v_fma_f64 v[100:101], v[60:61], s[28:29], v[102:103]
	v_add_f64 v[25:26], v[37:38], v[25:26]
	v_add_f64 v[35:36], v[82:83], v[35:36]
	v_fma_f64 v[37:38], v[56:57], s[22:23], -v[90:91]
	v_fma_f64 v[82:83], v[74:75], s[14:15], v[98:99]
	v_add_f64 v[39:40], v[41:42], v[39:40]
	v_add_f64 v[41:42], v[96:97], v[92:93]
	v_fma_f64 v[90:91], v[29:30], s[26:27], v[104:105]
	v_mul_f64 v[92:93], v[72:73], s[16:17]
	v_add_f64 v[23:24], v[100:101], v[23:24]
	v_fma_f64 v[100:101], v[60:61], s[10:11], v[102:103]
	v_fma_f64 v[86:87], v[80:81], s[24:25], v[86:87]
	v_add_f64 v[25:26], v[37:38], v[25:26]
	v_add_f64 v[37:38], v[82:83], v[39:40]
	v_mul_f64 v[33:34], v[33:34], s[26:27]
	v_add_f64 v[39:40], v[90:91], v[41:42]
	v_fma_f64 v[41:42], v[45:46], s[30:31], v[92:93]
	v_fma_f64 v[84:85], v[78:79], s[6:7], -v[84:85]
	v_mul_f64 v[31:32], v[31:32], s[10:11]
	v_add_f64 v[86:87], v[86:87], v[88:89]
	v_fma_f64 v[88:89], v[74:75], s[14:15], -v[98:99]
	v_mul_f64 v[98:99], v[27:28], s[14:15]
	v_add_f64 v[27:28], v[100:101], v[35:36]
	v_mul_f64 v[96:97], v[54:55], s[30:31]
	v_add_f64 v[35:36], v[41:42], v[37:38]
	v_fma_f64 v[37:38], v[78:79], s[14:15], v[33:34]
	v_add_f64 v[84:85], v[84:85], v[106:107]
	v_mul_f64 v[72:73], v[72:73], s[20:21]
	v_fma_f64 v[33:34], v[78:79], s[14:15], -v[33:34]
	v_mul_f64 v[76:77], v[76:77], s[22:23]
	v_fma_f64 v[90:91], v[29:30], s[18:19], v[104:105]
	v_fma_f64 v[82:83], v[70:71], s[34:35], v[96:97]
	v_mul_f64 v[54:55], v[54:55], s[4:5]
	v_add_f64 v[37:38], v[37:38], v[43:44]
	v_fma_f64 v[43:44], v[74:75], s[22:23], v[31:32]
	v_add_f64 v[41:42], v[88:89], v[84:85]
	v_fma_f64 v[84:85], v[80:81], s[18:19], v[98:99]
	v_fma_f64 v[80:81], v[80:81], s[26:27], v[98:99]
	v_add_f64 v[33:34], v[33:34], v[110:111]
	v_fma_f64 v[31:32], v[74:75], s[22:23], -v[31:32]
	v_fma_f64 v[88:89], v[29:30], s[28:29], v[76:77]
	v_fma_f64 v[29:30], v[29:30], s[10:11], v[76:77]
	v_add_f64 v[37:38], v[43:44], v[37:38]
	v_fma_f64 v[43:44], v[45:46], s[4:5], v[72:73]
	v_add_f64 v[84:85], v[84:85], v[94:95]
	v_add_f64 v[80:81], v[80:81], v[112:113]
	;; [unrolled: 1-line block ×4, first 2 shown]
	v_fma_f64 v[86:87], v[45:46], s[30:31], -v[92:93]
	v_add_f64 v[31:32], v[31:32], v[33:34]
	v_mul_f64 v[33:34], v[62:63], s[20:21]
	v_add_f64 v[37:38], v[43:44], v[37:38]
	v_fma_f64 v[43:44], v[45:46], s[4:5], -v[72:73]
	v_mul_f64 v[45:46], v[58:59], s[4:5]
	v_fma_f64 v[78:79], v[70:71], s[16:17], v[96:97]
	v_add_f64 v[74:75], v[88:89], v[84:85]
	v_fma_f64 v[84:85], v[70:71], s[2:3], v[54:55]
	v_mul_f64 v[62:63], v[62:63], s[0:1]
	v_mul_f64 v[58:59], v[58:59], s[6:7]
	v_add_f64 v[29:30], v[29:30], v[80:81]
	v_fma_f64 v[54:55], v[70:71], s[20:21], v[54:55]
	v_fma_f64 v[70:71], v[56:57], s[4:5], v[33:34]
	v_add_f64 v[43:44], v[43:44], v[31:32]
	v_fma_f64 v[31:32], v[60:61], s[2:3], v[45:46]
	v_add_f64 v[76:77], v[78:79], v[82:83]
	v_add_f64 v[72:73], v[84:85], v[74:75]
	v_fma_f64 v[74:75], v[56:57], s[6:7], v[62:63]
	v_fma_f64 v[78:79], v[60:61], s[24:25], v[58:59]
	v_add_f64 v[41:42], v[86:87], v[41:42]
	v_fma_f64 v[33:34], v[56:57], s[4:5], -v[33:34]
	v_add_f64 v[54:55], v[54:55], v[29:30]
	v_fma_f64 v[56:57], v[56:57], s[6:7], -v[62:63]
	v_fma_f64 v[58:59], v[60:61], s[0:1], v[58:59]
	v_fma_f64 v[45:46], v[60:61], s[20:21], v[45:46]
	v_add_f64 v[29:30], v[70:71], v[35:36]
	v_add_f64 v[31:32], v[31:32], v[39:40]
	;; [unrolled: 1-line block ×7, first 2 shown]
	s_movk_i32 s0, 0xa0
	v_add_f64 v[35:36], v[45:46], v[76:77]
	v_mad_u32_u24 v45, v69, s0, v68
	s_waitcnt lgkmcnt(0)
	; wave barrier
	ds_write_b128 v45, v[4:7]
	ds_write_b128 v45, v[9:12] offset:16
	ds_write_b128 v45, v[13:16] offset:32
	;; [unrolled: 1-line block ×10, first 2 shown]
	v_lshl_add_u32 v4, v50, 4, v8
	v_lshl_add_u32 v5, v49, 4, v8
	;; [unrolled: 1-line block ×4, first 2 shown]
	s_waitcnt lgkmcnt(0)
	; wave barrier
	s_waitcnt lgkmcnt(0)
	ds_read_b128 v[40:43], v4
	ds_read_b128 v[16:19], v5
	ds_read_b128 v[44:47], v6
	ds_read_b128 v[24:27], v7
	ds_read_b128 v[4:7], v67
	ds_read_b128 v[32:35], v68 offset:2816
	ds_read_b128 v[28:31], v68 offset:3328
	;; [unrolled: 1-line block ×5, first 2 shown]
	v_cmp_gt_u32_e64 s[0:1], 16, v69
                                        ; implicit-def: $vgpr38_vgpr39
	s_and_saveexec_b64 s[2:3], s[0:1]
	s_cbranch_execz .LBB0_15
; %bb.14:
	v_lshlrev_b32_e32 v0, 4, v51
	v_add3_u32 v0, 0, v0, v48
	ds_read_b128 v[0:3], v0
	ds_read_b128 v[36:39], v68 offset:5376
.LBB0_15:
	s_or_b64 exec, exec, s[2:3]
	v_mul_lo_u16_e32 v54, 24, v69
	v_lshrrev_b16_e32 v62, 8, v54
	v_mul_lo_u16_e32 v54, 11, v62
	v_sub_u16_e32 v54, v69, v54
	v_mov_b32_e32 v63, 4
	s_movk_i32 s2, 0x75
	v_lshlrev_b32_sdwa v86, v63, v54 dst_sel:DWORD dst_unused:UNUSED_PAD src0_sel:DWORD src1_sel:BYTE_0
	v_mul_lo_u16_sdwa v54, v50, s2 dst_sel:DWORD dst_unused:UNUSED_PAD src0_sel:BYTE_0 src1_sel:DWORD
	v_sub_u16_sdwa v55, v50, v54 dst_sel:DWORD dst_unused:UNUSED_PAD src0_sel:DWORD src1_sel:BYTE_1
	v_lshrrev_b16_e32 v55, 1, v55
	v_and_b32_e32 v55, 0x7f, v55
	v_add_u16_sdwa v54, v55, v54 dst_sel:DWORD dst_unused:UNUSED_PAD src0_sel:DWORD src1_sel:BYTE_1
	v_lshrrev_b16_e32 v87, 3, v54
	v_mul_lo_u16_e32 v54, 11, v87
	v_sub_u16_e32 v50, v50, v54
	v_lshlrev_b32_sdwa v88, v63, v50 dst_sel:DWORD dst_unused:UNUSED_PAD src0_sel:DWORD src1_sel:BYTE_0
	v_mul_lo_u16_sdwa v50, v49, s2 dst_sel:DWORD dst_unused:UNUSED_PAD src0_sel:BYTE_0 src1_sel:DWORD
	v_sub_u16_sdwa v70, v49, v50 dst_sel:DWORD dst_unused:UNUSED_PAD src0_sel:DWORD src1_sel:BYTE_1
	v_lshrrev_b16_e32 v70, 1, v70
	v_and_b32_e32 v70, 0x7f, v70
	v_add_u16_sdwa v50, v70, v50 dst_sel:DWORD dst_unused:UNUSED_PAD src0_sel:DWORD src1_sel:BYTE_1
	v_lshrrev_b16_e32 v89, 3, v50
	v_mul_lo_u16_e32 v50, 11, v89
	v_sub_u16_e32 v49, v49, v50
	;; [unrolled: 9-line block ×5, first 2 shown]
	v_lshlrev_b32_sdwa v50, v63, v50 dst_sel:DWORD dst_unused:UNUSED_PAD src0_sel:DWORD src1_sel:BYTE_0
	global_load_dwordx4 v[54:57], v86, s[8:9]
	global_load_dwordx4 v[58:61], v88, s[8:9]
	;; [unrolled: 1-line block ×6, first 2 shown]
	s_movk_i32 s4, 0x160
	v_mad_u32_u24 v51, v62, s4, 0
	v_add3_u32 v96, v51, v86, v48
	v_mad_u32_u24 v51, v87, s4, 0
	v_mad_u32_u24 v52, v89, s4, 0
	;; [unrolled: 1-line block ×3, first 2 shown]
	v_add3_u32 v97, v51, v88, v48
	v_add3_u32 v98, v52, v90, v48
	;; [unrolled: 1-line block ×3, first 2 shown]
	s_waitcnt lgkmcnt(0)
	; wave barrier
	s_waitcnt vmcnt(5) lgkmcnt(0)
	v_mul_f64 v[51:52], v[34:35], v[56:57]
	v_mul_f64 v[56:57], v[32:33], v[56:57]
	s_waitcnt vmcnt(4)
	v_mul_f64 v[62:63], v[30:31], v[60:61]
	v_mul_f64 v[60:61], v[28:29], v[60:61]
	s_waitcnt vmcnt(3)
	;; [unrolled: 3-line block ×5, first 2 shown]
	v_mul_f64 v[92:93], v[38:39], v[84:85]
	v_mul_f64 v[84:85], v[36:37], v[84:85]
	v_fma_f64 v[32:33], v[32:33], v[54:55], v[51:52]
	v_fma_f64 v[34:35], v[34:35], v[54:55], -v[56:57]
	v_fma_f64 v[28:29], v[28:29], v[58:59], v[62:63]
	v_fma_f64 v[30:31], v[30:31], v[58:59], -v[60:61]
	;; [unrolled: 2-line block ×6, first 2 shown]
	v_add_f64 v[8:9], v[4:5], -v[32:33]
	v_add_f64 v[10:11], v[6:7], -v[34:35]
	;; [unrolled: 1-line block ×12, first 2 shown]
	v_fma_f64 v[4:5], v[4:5], 2.0, -v[8:9]
	v_fma_f64 v[6:7], v[6:7], 2.0, -v[10:11]
	;; [unrolled: 1-line block ×12, first 2 shown]
	v_mad_u32_u24 v0, v94, s4, 0
	v_add3_u32 v0, v0, v95, v48
	ds_write_b128 v96, v[8:11] offset:176
	ds_write_b128 v96, v[4:7]
	ds_write_b128 v97, v[20:23] offset:176
	ds_write_b128 v97, v[40:43]
	ds_write_b128 v98, v[16:19]
	ds_write_b128 v98, v[12:15] offset:176
	ds_write_b128 v99, v[44:47]
	ds_write_b128 v99, v[32:35] offset:176
	;; [unrolled: 2-line block ×3, first 2 shown]
	s_and_saveexec_b64 s[2:3], s[0:1]
	s_cbranch_execz .LBB0_17
; %bb.16:
	v_mad_u32_u24 v0, v49, s4, 0
	v_add3_u32 v0, v0, v50, v48
	ds_write_b128 v0, v[52:55]
	ds_write_b128 v0, v[36:39] offset:176
.LBB0_17:
	s_or_b64 exec, exec, s[2:3]
	v_cmp_gt_u32_e64 s[0:1], 22, v69
	s_waitcnt lgkmcnt(0)
	; wave barrier
	s_waitcnt lgkmcnt(0)
                                        ; implicit-def: $vgpr2_vgpr3
                                        ; implicit-def: $vgpr50_vgpr51
                                        ; implicit-def: $vgpr62_vgpr63
                                        ; implicit-def: $vgpr58_vgpr59
	s_and_saveexec_b64 s[2:3], s[0:1]
	s_cbranch_execz .LBB0_19
; %bb.18:
	ds_read_b128 v[4:7], v67
	ds_read_b128 v[8:11], v68 offset:352
	ds_read_b128 v[40:43], v68 offset:704
	;; [unrolled: 1-line block ×15, first 2 shown]
.LBB0_19:
	s_or_b64 exec, exec, s[2:3]
	s_waitcnt lgkmcnt(0)
	; wave barrier
	s_waitcnt lgkmcnt(0)
	s_and_saveexec_b64 s[2:3], s[0:1]
	s_cbranch_execz .LBB0_21
; %bb.20:
	v_subrev_u32_e32 v70, 22, v69
	v_cndmask_b32_e64 v69, v70, v69, s[0:1]
	v_mul_i32_i24_e32 v69, 15, v69
	v_mov_b32_e32 v70, 0
	v_lshlrev_b64 v[69:70], 4, v[69:70]
	v_mov_b32_e32 v71, s9
	v_add_co_u32_e64 v117, s[0:1], s8, v69
	v_addc_co_u32_e64 v118, s[0:1], v71, v70, s[0:1]
	global_load_dwordx4 v[69:72], v[117:118], off offset:192
	global_load_dwordx4 v[73:76], v[117:118], off offset:320
	;; [unrolled: 1-line block ×12, first 2 shown]
	s_mov_b32 s0, 0x667f3bcd
	s_mov_b32 s1, 0x3fe6a09e
	;; [unrolled: 1-line block ×12, first 2 shown]
	s_waitcnt vmcnt(11)
	v_mul_f64 v[119:120], v[40:41], v[71:72]
	v_mul_f64 v[71:72], v[42:43], v[71:72]
	s_waitcnt vmcnt(10)
	v_mul_f64 v[121:122], v[52:53], v[75:76]
	v_mul_f64 v[75:76], v[54:55], v[75:76]
	v_fma_f64 v[119:120], v[42:43], v[69:70], -v[119:120]
	v_fma_f64 v[123:124], v[40:41], v[69:70], v[71:72]
	global_load_dwordx4 v[40:43], v[117:118], off offset:240
	global_load_dwordx4 v[69:72], v[117:118], off offset:368
	v_fma_f64 v[121:122], v[54:55], v[73:74], -v[121:122]
	v_fma_f64 v[73:74], v[52:53], v[73:74], v[75:76]
	global_load_dwordx4 v[52:55], v[117:118], off offset:400
	s_waitcnt vmcnt(12)
	v_mul_f64 v[75:76], v[46:47], v[79:80]
	v_mul_f64 v[79:80], v[44:45], v[79:80]
	s_waitcnt vmcnt(11)
	v_mul_f64 v[117:118], v[62:63], v[83:84]
	v_fma_f64 v[44:45], v[44:45], v[77:78], v[75:76]
	v_fma_f64 v[46:47], v[46:47], v[77:78], -v[79:80]
	v_mul_f64 v[75:76], v[60:61], v[83:84]
	s_waitcnt vmcnt(9)
	v_mul_f64 v[79:80], v[20:21], v[91:92]
	v_mul_f64 v[83:84], v[22:23], v[91:92]
	s_waitcnt vmcnt(5)
	v_mul_f64 v[91:92], v[36:37], v[107:108]
	v_mul_f64 v[107:108], v[38:39], v[107:108]
	;; [unrolled: 1-line block ×3, first 2 shown]
	v_fma_f64 v[60:61], v[60:61], v[81:82], v[117:118]
	v_mul_f64 v[87:88], v[26:27], v[87:88]
	v_fma_f64 v[62:63], v[62:63], v[81:82], -v[75:76]
	v_mul_f64 v[75:76], v[18:19], v[95:96]
	v_mul_f64 v[81:82], v[2:3], v[103:104]
	v_fma_f64 v[22:23], v[22:23], v[89:90], -v[79:80]
	v_fma_f64 v[20:21], v[20:21], v[89:90], v[83:84]
	v_mul_f64 v[79:80], v[8:9], v[99:100]
	s_waitcnt vmcnt(4)
	v_mul_f64 v[83:84], v[28:29], v[111:112]
	s_waitcnt vmcnt(3)
	v_mul_f64 v[89:90], v[34:35], v[115:116]
	v_fma_f64 v[38:39], v[38:39], v[105:106], -v[91:92]
	v_fma_f64 v[36:37], v[36:37], v[105:106], v[107:108]
	v_mul_f64 v[115:116], v[32:33], v[115:116]
	v_fma_f64 v[26:27], v[26:27], v[85:86], -v[77:78]
	v_fma_f64 v[24:25], v[24:25], v[85:86], v[87:88]
	v_fma_f64 v[32:33], v[32:33], v[113:114], v[89:90]
	v_mul_f64 v[89:90], v[10:11], v[99:100]
	v_mul_f64 v[99:100], v[30:31], v[111:112]
	v_fma_f64 v[10:11], v[10:11], v[97:98], -v[79:80]
	v_fma_f64 v[30:31], v[30:31], v[109:110], -v[83:84]
	;; [unrolled: 1-line block ×3, first 2 shown]
	v_add_f64 v[26:27], v[6:7], -v[26:27]
	v_add_f64 v[38:39], v[22:23], -v[38:39]
	;; [unrolled: 1-line block ×3, first 2 shown]
	v_fma_f64 v[8:9], v[8:9], v[97:98], v[89:90]
	v_fma_f64 v[28:29], v[28:29], v[109:110], v[99:100]
	v_add_f64 v[24:25], v[4:5], -v[24:25]
	v_add_f64 v[30:31], v[10:11], -v[30:31]
	v_fma_f64 v[85:86], v[6:7], 2.0, -v[26:27]
	v_fma_f64 v[22:23], v[22:23], 2.0, -v[38:39]
	v_add_f64 v[28:29], v[8:9], -v[28:29]
	v_fma_f64 v[4:5], v[4:5], 2.0, -v[24:25]
	v_fma_f64 v[8:9], v[8:9], 2.0, -v[28:29]
	s_waitcnt vmcnt(2)
	v_mul_f64 v[91:92], v[14:15], v[42:43]
	s_waitcnt vmcnt(1)
	v_mul_f64 v[105:106], v[50:51], v[71:72]
	v_mul_f64 v[42:43], v[12:13], v[42:43]
	;; [unrolled: 1-line block ×3, first 2 shown]
	s_waitcnt vmcnt(0)
	v_mul_f64 v[107:108], v[58:59], v[54:55]
	v_mul_f64 v[54:55], v[56:57], v[54:55]
	v_fma_f64 v[12:13], v[12:13], v[40:41], v[91:92]
	v_fma_f64 v[48:49], v[48:49], v[69:70], v[105:106]
	v_fma_f64 v[14:15], v[14:15], v[40:41], -v[42:43]
	v_fma_f64 v[40:41], v[50:51], v[69:70], -v[71:72]
	v_fma_f64 v[56:57], v[56:57], v[52:53], v[107:108]
	v_fma_f64 v[52:53], v[58:59], v[52:53], -v[54:55]
	v_mul_f64 v[54:55], v[16:17], v[95:96]
	v_mul_f64 v[58:59], v[0:1], v[103:104]
	v_fma_f64 v[16:17], v[16:17], v[93:94], v[75:76]
	v_fma_f64 v[0:1], v[0:1], v[101:102], v[81:82]
	v_add_f64 v[42:43], v[119:120], -v[121:122]
	v_add_f64 v[50:51], v[44:45], -v[60:61]
	;; [unrolled: 1-line block ×4, first 2 shown]
	v_fma_f64 v[18:19], v[18:19], v[93:94], -v[54:55]
	v_fma_f64 v[2:3], v[2:3], v[101:102], -v[58:59]
	v_add_f64 v[54:55], v[123:124], -v[73:74]
	v_add_f64 v[0:1], v[16:17], -v[0:1]
	v_add_f64 v[58:59], v[46:47], -v[62:63]
	v_add_f64 v[52:53], v[34:35], -v[52:53]
	v_add_f64 v[60:61], v[42:43], -v[50:51]
	v_add_f64 v[69:70], v[30:31], -v[48:49]
	v_add_f64 v[71:72], v[38:39], -v[56:57]
	v_add_f64 v[2:3], v[18:19], -v[2:3]
	v_add_f64 v[40:41], v[14:15], -v[40:41]
	v_add_f64 v[62:63], v[26:27], -v[0:1]
	v_add_f64 v[73:74], v[54:55], v[58:59]
	v_add_f64 v[75:76], v[36:37], v[52:53]
	v_fma_f64 v[6:7], v[44:45], 2.0, -v[50:51]
	v_fma_f64 v[12:13], v[12:13], 2.0, -v[48:49]
	v_fma_f64 v[81:82], v[71:72], s[0:1], v[69:70]
	v_add_f64 v[83:84], v[24:25], v[2:3]
	v_add_f64 v[77:78], v[28:29], v[40:41]
	v_fma_f64 v[79:80], v[60:61], s[0:1], v[62:63]
	v_fma_f64 v[2:3], v[18:19], 2.0, -v[2:3]
	v_fma_f64 v[18:19], v[123:124], 2.0, -v[54:55]
	;; [unrolled: 1-line block ×4, first 2 shown]
	v_fma_f64 v[44:45], v[75:76], s[0:1], v[77:78]
	v_fma_f64 v[50:51], v[73:74], s[4:5], v[79:80]
	;; [unrolled: 1-line block ×3, first 2 shown]
	v_fma_f64 v[81:82], v[10:11], 2.0, -v[30:31]
	v_fma_f64 v[10:11], v[14:15], 2.0, -v[40:41]
	;; [unrolled: 1-line block ×4, first 2 shown]
	v_fma_f64 v[32:33], v[73:74], s[0:1], v[83:84]
	v_fma_f64 v[40:41], v[71:72], s[0:1], v[44:45]
	v_add_f64 v[48:49], v[85:86], -v[2:3]
	v_fma_f64 v[44:45], v[79:80], s[6:7], v[50:51]
	v_add_f64 v[56:57], v[18:19], -v[6:7]
	v_add_f64 v[87:88], v[81:82], -v[10:11]
	v_fma_f64 v[36:37], v[36:37], 2.0, -v[75:76]
	v_add_f64 v[10:11], v[14:15], -v[20:21]
	v_fma_f64 v[89:90], v[60:61], s[0:1], v[32:33]
	v_fma_f64 v[20:21], v[34:35], 2.0, -v[52:53]
	v_add_f64 v[32:33], v[8:9], -v[12:13]
	v_fma_f64 v[34:35], v[26:27], 2.0, -v[62:63]
	v_fma_f64 v[12:13], v[42:43], 2.0, -v[60:61]
	;; [unrolled: 1-line block ×8, first 2 shown]
	v_fma_f64 v[2:3], v[40:41], s[8:9], v[44:45]
	v_fma_f64 v[16:17], v[12:13], s[4:5], v[34:35]
	v_add_f64 v[44:45], v[48:49], -v[56:57]
	v_fma_f64 v[54:55], v[30:31], s[4:5], v[60:61]
	v_add_f64 v[52:53], v[87:88], -v[10:11]
	v_add_f64 v[20:21], v[22:23], -v[20:21]
	;; [unrolled: 1-line block ×4, first 2 shown]
	v_fma_f64 v[0:1], v[36:37], s[4:5], v[28:29]
	v_fma_f64 v[75:76], v[46:47], s[4:5], v[16:17]
	;; [unrolled: 1-line block ×5, first 2 shown]
	v_add_f64 v[71:72], v[32:33], v[20:21]
	v_fma_f64 v[46:47], v[8:9], 2.0, -v[32:33]
	v_fma_f64 v[8:9], v[14:15], 2.0, -v[10:11]
	;; [unrolled: 1-line block ×4, first 2 shown]
	v_add_f64 v[85:86], v[73:74], v[42:43]
	v_fma_f64 v[14:15], v[54:55], s[10:11], v[75:76]
	v_fma_f64 v[42:43], v[30:31], s[0:1], v[0:1]
	;; [unrolled: 1-line block ×4, first 2 shown]
	v_add_f64 v[58:59], v[46:47], -v[8:9]
	v_fma_f64 v[4:5], v[4:5], 2.0, -v[73:74]
	v_fma_f64 v[0:1], v[18:19], 2.0, -v[56:57]
	v_fma_f64 v[56:57], v[81:82], 2.0, -v[87:88]
	v_fma_f64 v[8:9], v[22:23], 2.0, -v[20:21]
	v_fma_f64 v[26:27], v[40:41], s[6:7], v[89:90]
	v_fma_f64 v[12:13], v[71:72], s[0:1], v[85:86]
	;; [unrolled: 1-line block ×4, first 2 shown]
	v_add_f64 v[38:39], v[36:37], -v[38:39]
	v_add_f64 v[20:21], v[4:5], -v[0:1]
	v_fma_f64 v[48:49], v[48:49], 2.0, -v[44:45]
	v_add_f64 v[81:82], v[56:57], -v[8:9]
	v_fma_f64 v[0:1], v[79:80], s[10:11], v[26:27]
	v_fma_f64 v[8:9], v[52:53], s[0:1], v[12:13]
	v_fma_f64 v[26:27], v[75:76], 2.0, -v[14:15]
	v_fma_f64 v[12:13], v[54:55], s[6:7], v[16:17]
	v_fma_f64 v[52:53], v[87:88], 2.0, -v[52:53]
	v_fma_f64 v[75:76], v[34:35], 2.0, -v[75:76]
	v_fma_f64 v[54:55], v[60:61], 2.0, -v[54:55]
	v_fma_f64 v[28:29], v[28:29], 2.0, -v[42:43]
	v_fma_f64 v[24:25], v[24:25], 2.0, -v[91:92]
	v_fma_f64 v[32:33], v[32:33], 2.0, -v[71:72]
	v_fma_f64 v[71:72], v[73:74], 2.0, -v[85:86]
	v_fma_f64 v[6:7], v[50:51], 2.0, -v[2:3]
	v_fma_f64 v[50:51], v[62:63], 2.0, -v[50:51]
	v_fma_f64 v[62:63], v[69:70], 2.0, -v[79:80]
	v_fma_f64 v[34:35], v[77:78], 2.0, -v[40:41]
	v_fma_f64 v[77:78], v[83:84], 2.0, -v[89:90]
	v_fma_f64 v[22:23], v[44:45], 2.0, -v[10:11]
	v_fma_f64 v[60:61], v[36:37], 2.0, -v[38:39]
	v_fma_f64 v[36:37], v[56:57], 2.0, -v[81:82]
	v_fma_f64 v[4:5], v[4:5], 2.0, -v[20:21]
	v_fma_f64 v[44:45], v[46:47], 2.0, -v[58:59]
	v_add_f64 v[18:19], v[38:39], -v[58:59]
	v_fma_f64 v[40:41], v[52:53], s[4:5], v[48:49]
	v_fma_f64 v[42:43], v[54:55], s[14:15], v[75:76]
	;; [unrolled: 1-line block ×6, first 2 shown]
	v_add_f64 v[46:47], v[60:61], -v[36:37]
	v_add_f64 v[44:45], v[4:5], -v[44:45]
	v_fma_f64 v[30:31], v[38:39], 2.0, -v[18:19]
	v_fma_f64 v[38:39], v[32:33], s[4:5], v[40:41]
	v_fma_f64 v[42:43], v[28:29], s[8:9], v[42:43]
	;; [unrolled: 1-line block ×6, first 2 shown]
	v_add_f64 v[16:17], v[20:21], v[81:82]
	v_fma_f64 v[62:63], v[60:61], 2.0, -v[46:47]
	v_fma_f64 v[60:61], v[4:5], 2.0, -v[44:45]
	;; [unrolled: 1-line block ×12, first 2 shown]
	ds_write_b128 v67, v[60:63]
	ds_write_b128 v68, v[56:59] offset:352
	ds_write_b128 v68, v[52:55] offset:704
	;; [unrolled: 1-line block ×15, first 2 shown]
.LBB0_21:
	s_or_b64 exec, exec, s[2:3]
	s_waitcnt lgkmcnt(0)
	; wave barrier
	s_waitcnt lgkmcnt(0)
	s_and_saveexec_b64 s[0:1], vcc
	s_cbranch_execz .LBB0_23
; %bb.22:
	v_mov_b32_e32 v0, s13
	v_add_co_u32_e32 v22, vcc, s12, v64
	v_addc_co_u32_e32 v23, vcc, v0, v65, vcc
	ds_read_b128 v[0:3], v67
	ds_read_b128 v[4:7], v67 offset:512
	ds_read_b128 v[8:11], v67 offset:1024
	v_add_co_u32_e32 v20, vcc, v22, v66
	v_addc_co_u32_e32 v21, vcc, 0, v23, vcc
	s_waitcnt lgkmcnt(2)
	global_store_dwordx4 v[20:21], v[0:3], off
	s_waitcnt lgkmcnt(1)
	global_store_dwordx4 v[20:21], v[4:7], off offset:512
	s_waitcnt lgkmcnt(0)
	global_store_dwordx4 v[20:21], v[8:11], off offset:1024
	ds_read_b128 v[0:3], v67 offset:1536
	ds_read_b128 v[4:7], v67 offset:2048
	;; [unrolled: 1-line block ×5, first 2 shown]
	s_waitcnt lgkmcnt(4)
	global_store_dwordx4 v[20:21], v[0:3], off offset:1536
	s_waitcnt lgkmcnt(3)
	global_store_dwordx4 v[20:21], v[4:7], off offset:2048
	;; [unrolled: 2-line block ×5, first 2 shown]
	ds_read_b128 v[0:3], v67 offset:4096
	v_or_b32_e32 v4, 0x1000, v66
	v_add_co_u32_e32 v8, vcc, v22, v4
	ds_read_b128 v[4:7], v67 offset:4608
	v_addc_co_u32_e32 v9, vcc, 0, v23, vcc
	s_waitcnt lgkmcnt(1)
	global_store_dwordx4 v[8:9], v[0:3], off
	s_nop 0
	v_or_b32_e32 v0, 0x1200, v66
	v_add_co_u32_e32 v0, vcc, v22, v0
	v_addc_co_u32_e32 v1, vcc, 0, v23, vcc
	s_waitcnt lgkmcnt(0)
	global_store_dwordx4 v[0:1], v[4:7], off
	ds_read_b128 v[0:3], v67 offset:5120
	v_or_b32_e32 v4, 0x1400, v66
	v_add_co_u32_e32 v4, vcc, v22, v4
	v_addc_co_u32_e32 v5, vcc, 0, v23, vcc
	s_waitcnt lgkmcnt(0)
	global_store_dwordx4 v[4:5], v[0:3], off
.LBB0_23:
	s_endpgm
	.section	.rodata,"a",@progbits
	.p2align	6, 0x0
	.amdhsa_kernel fft_rtc_back_len352_factors_11_2_16_wgs_64_tpt_32_dp_ip_CI_unitstride_sbrr_dirReg
		.amdhsa_group_segment_fixed_size 0
		.amdhsa_private_segment_fixed_size 0
		.amdhsa_kernarg_size 88
		.amdhsa_user_sgpr_count 6
		.amdhsa_user_sgpr_private_segment_buffer 1
		.amdhsa_user_sgpr_dispatch_ptr 0
		.amdhsa_user_sgpr_queue_ptr 0
		.amdhsa_user_sgpr_kernarg_segment_ptr 1
		.amdhsa_user_sgpr_dispatch_id 0
		.amdhsa_user_sgpr_flat_scratch_init 0
		.amdhsa_user_sgpr_private_segment_size 0
		.amdhsa_uses_dynamic_stack 0
		.amdhsa_system_sgpr_private_segment_wavefront_offset 0
		.amdhsa_system_sgpr_workgroup_id_x 1
		.amdhsa_system_sgpr_workgroup_id_y 0
		.amdhsa_system_sgpr_workgroup_id_z 0
		.amdhsa_system_sgpr_workgroup_info 0
		.amdhsa_system_vgpr_workitem_id 0
		.amdhsa_next_free_vgpr 125
		.amdhsa_next_free_sgpr 36
		.amdhsa_reserve_vcc 1
		.amdhsa_reserve_flat_scratch 0
		.amdhsa_float_round_mode_32 0
		.amdhsa_float_round_mode_16_64 0
		.amdhsa_float_denorm_mode_32 3
		.amdhsa_float_denorm_mode_16_64 3
		.amdhsa_dx10_clamp 1
		.amdhsa_ieee_mode 1
		.amdhsa_fp16_overflow 0
		.amdhsa_exception_fp_ieee_invalid_op 0
		.amdhsa_exception_fp_denorm_src 0
		.amdhsa_exception_fp_ieee_div_zero 0
		.amdhsa_exception_fp_ieee_overflow 0
		.amdhsa_exception_fp_ieee_underflow 0
		.amdhsa_exception_fp_ieee_inexact 0
		.amdhsa_exception_int_div_zero 0
	.end_amdhsa_kernel
	.text
.Lfunc_end0:
	.size	fft_rtc_back_len352_factors_11_2_16_wgs_64_tpt_32_dp_ip_CI_unitstride_sbrr_dirReg, .Lfunc_end0-fft_rtc_back_len352_factors_11_2_16_wgs_64_tpt_32_dp_ip_CI_unitstride_sbrr_dirReg
                                        ; -- End function
	.section	.AMDGPU.csdata,"",@progbits
; Kernel info:
; codeLenInByte = 8084
; NumSgprs: 40
; NumVgprs: 125
; ScratchSize: 0
; MemoryBound: 0
; FloatMode: 240
; IeeeMode: 1
; LDSByteSize: 0 bytes/workgroup (compile time only)
; SGPRBlocks: 4
; VGPRBlocks: 31
; NumSGPRsForWavesPerEU: 40
; NumVGPRsForWavesPerEU: 125
; Occupancy: 2
; WaveLimiterHint : 1
; COMPUTE_PGM_RSRC2:SCRATCH_EN: 0
; COMPUTE_PGM_RSRC2:USER_SGPR: 6
; COMPUTE_PGM_RSRC2:TRAP_HANDLER: 0
; COMPUTE_PGM_RSRC2:TGID_X_EN: 1
; COMPUTE_PGM_RSRC2:TGID_Y_EN: 0
; COMPUTE_PGM_RSRC2:TGID_Z_EN: 0
; COMPUTE_PGM_RSRC2:TIDIG_COMP_CNT: 0
	.type	__hip_cuid_3745f579fa1119af,@object ; @__hip_cuid_3745f579fa1119af
	.section	.bss,"aw",@nobits
	.globl	__hip_cuid_3745f579fa1119af
__hip_cuid_3745f579fa1119af:
	.byte	0                               ; 0x0
	.size	__hip_cuid_3745f579fa1119af, 1

	.ident	"AMD clang version 19.0.0git (https://github.com/RadeonOpenCompute/llvm-project roc-6.4.0 25133 c7fe45cf4b819c5991fe208aaa96edf142730f1d)"
	.section	".note.GNU-stack","",@progbits
	.addrsig
	.addrsig_sym __hip_cuid_3745f579fa1119af
	.amdgpu_metadata
---
amdhsa.kernels:
  - .args:
      - .actual_access:  read_only
        .address_space:  global
        .offset:         0
        .size:           8
        .value_kind:     global_buffer
      - .offset:         8
        .size:           8
        .value_kind:     by_value
      - .actual_access:  read_only
        .address_space:  global
        .offset:         16
        .size:           8
        .value_kind:     global_buffer
      - .actual_access:  read_only
        .address_space:  global
        .offset:         24
        .size:           8
        .value_kind:     global_buffer
      - .offset:         32
        .size:           8
        .value_kind:     by_value
      - .actual_access:  read_only
        .address_space:  global
        .offset:         40
        .size:           8
        .value_kind:     global_buffer
      - .actual_access:  read_only
        .address_space:  global
        .offset:         48
        .size:           8
        .value_kind:     global_buffer
      - .offset:         56
        .size:           4
        .value_kind:     by_value
      - .actual_access:  read_only
        .address_space:  global
        .offset:         64
        .size:           8
        .value_kind:     global_buffer
      - .actual_access:  read_only
        .address_space:  global
        .offset:         72
        .size:           8
        .value_kind:     global_buffer
      - .address_space:  global
        .offset:         80
        .size:           8
        .value_kind:     global_buffer
    .group_segment_fixed_size: 0
    .kernarg_segment_align: 8
    .kernarg_segment_size: 88
    .language:       OpenCL C
    .language_version:
      - 2
      - 0
    .max_flat_workgroup_size: 64
    .name:           fft_rtc_back_len352_factors_11_2_16_wgs_64_tpt_32_dp_ip_CI_unitstride_sbrr_dirReg
    .private_segment_fixed_size: 0
    .sgpr_count:     40
    .sgpr_spill_count: 0
    .symbol:         fft_rtc_back_len352_factors_11_2_16_wgs_64_tpt_32_dp_ip_CI_unitstride_sbrr_dirReg.kd
    .uniform_work_group_size: 1
    .uses_dynamic_stack: false
    .vgpr_count:     125
    .vgpr_spill_count: 0
    .wavefront_size: 64
amdhsa.target:   amdgcn-amd-amdhsa--gfx906
amdhsa.version:
  - 1
  - 2
...

	.end_amdgpu_metadata
